;; amdgpu-corpus repo=ROCm/rocm-examples kind=compiled arch=gfx1100 opt=O3
	.text
	.amdgcn_target "amdgcn-amd-amdhsa--gfx1100"
	.amdhsa_code_object_version 6
	.protected	_Z18histogram256_blockPhPji ; -- Begin function _Z18histogram256_blockPhPji
	.globl	_Z18histogram256_blockPhPji
	.p2align	8
	.type	_Z18histogram256_blockPhPji,@function
_Z18histogram256_blockPhPji:            ; @_Z18histogram256_blockPhPji
; %bb.0:
	s_load_b32 s2, s[0:1], 0x24
	v_mov_b32_e32 v1, 0
	s_delay_alu instid0(VALU_DEP_1) | instskip(SKIP_2) | instid1(SALU_CYCLE_1)
	v_mov_b32_e32 v4, v1
	s_waitcnt lgkmcnt(0)
	s_and_b32 s6, s2, 0xffff
	s_ctz_i32_b32 s2, s6
	s_delay_alu instid0(SALU_CYCLE_1) | instskip(SKIP_2) | instid1(SALU_CYCLE_1)
	s_add_i32 s2, s2, -2
	s_cmp_lg_u32 s6, 0
	s_cselect_b32 s2, s2, -3
	v_bfe_u32 v2, v0, 0, s2
	v_lshrrev_b32_e32 v3, s2, v0
	s_mov_b32 s2, 0
	s_delay_alu instid0(VALU_DEP_1) | instskip(SKIP_2) | instid1(VALU_DEP_3)
	v_lshl_or_b32 v5, v2, 2, v3
	v_mov_b32_e32 v2, v1
	v_mov_b32_e32 v3, v1
	v_lshl_add_u32 v6, v5, 8, 0
.LBB0_1:                                ; =>This Inner Loop Header: Depth=1
	s_delay_alu instid0(VALU_DEP_1) | instskip(SKIP_1) | instid1(SALU_CYCLE_1)
	v_add_nc_u32_e32 v7, s2, v6
	s_add_i32 s2, s2, 16
	s_cmpk_eq_i32 s2, 0x100
	ds_store_b128 v7, v[1:4]
	s_cbranch_scc0 .LBB0_1
; %bb.2:
	s_clause 0x1
	s_load_b32 s7, s[0:1], 0x10
	s_load_b128 s[0:3], s[0:1], 0x0
	s_waitcnt lgkmcnt(0)
	s_barrier
	buffer_gl0_inv
	s_cmp_lt_i32 s7, 1
	s_cbranch_scc1 .LBB0_9
; %bb.3:
	v_mad_u64_u32 v[1:2], null, s15, s6, v[0:1]
	s_cmp_lt_u32 s7, 8
	s_mov_b32 s4, 0
	s_delay_alu instid0(VALU_DEP_1)
	v_mul_lo_u32 v0, v1, s7
	s_cbranch_scc1 .LBB0_6
; %bb.4:
	s_delay_alu instid0(VALU_DEP_1) | instskip(SKIP_3) | instid1(VALU_DEP_2)
	v_ashrrev_i32_e32 v2, 31, v0
	v_add_co_u32 v1, vcc_lo, s0, v0
	s_and_b32 s8, s7, 0x7ffffff8
	s_mov_b64 s[4:5], 0
	v_add_co_ci_u32_e32 v2, vcc_lo, s1, v2, vcc_lo
.LBB0_5:                                ; =>This Inner Loop Header: Depth=1
	s_delay_alu instid0(VALU_DEP_2) | instskip(NEXT) | instid1(VALU_DEP_2)
	v_add_co_u32 v3, vcc_lo, v1, s4
	v_add_co_ci_u32_e32 v4, vcc_lo, s5, v2, vcc_lo
	s_add_u32 s4, s4, 8
	s_addc_u32 s5, s5, 0
	s_cmp_eq_u32 s8, s4
	global_load_b64 v[3:4], v[3:4], off
	s_waitcnt vmcnt(0)
	v_and_b32_e32 v6, 0xff, v3
	v_bfe_u32 v8, v3, 8, 8
	s_delay_alu instid0(VALU_DEP_2) | instskip(NEXT) | instid1(VALU_DEP_2)
	v_mul_u32_u24_e32 v6, s6, v6
	v_mul_u32_u24_e32 v8, s6, v8
	s_delay_alu instid0(VALU_DEP_2) | instskip(NEXT) | instid1(VALU_DEP_2)
	v_add3_u32 v6, v6, v5, 0
	v_add3_u32 v8, v8, v5, 0
	ds_load_u8 v7, v6
	s_waitcnt lgkmcnt(0)
	v_add_nc_u16 v7, v7, 1
	ds_store_b8 v6, v7
	ds_load_u8 v6, v8
	v_bfe_u32 v7, v3, 16, 8
	v_lshrrev_b32_e32 v3, 24, v3
	s_delay_alu instid0(VALU_DEP_2) | instskip(NEXT) | instid1(VALU_DEP_2)
	v_mul_u32_u24_e32 v7, s6, v7
	v_mul_u32_u24_e32 v3, s6, v3
	s_delay_alu instid0(VALU_DEP_2) | instskip(NEXT) | instid1(VALU_DEP_2)
	v_add3_u32 v7, v7, v5, 0
	v_add3_u32 v3, v3, v5, 0
	s_waitcnt lgkmcnt(0)
	v_add_nc_u16 v6, v6, 1
	ds_store_b8 v8, v6
	ds_load_u8 v6, v7
	s_waitcnt lgkmcnt(0)
	v_add_nc_u16 v6, v6, 1
	ds_store_b8 v7, v6
	ds_load_u8 v6, v3
	v_and_b32_e32 v7, 0xff, v4
	s_delay_alu instid0(VALU_DEP_1) | instskip(NEXT) | instid1(VALU_DEP_1)
	v_mul_u32_u24_e32 v7, s6, v7
	v_add3_u32 v7, v7, v5, 0
	s_waitcnt lgkmcnt(0)
	v_add_nc_u16 v6, v6, 1
	ds_store_b8 v3, v6
	ds_load_u8 v3, v7
	v_bfe_u32 v6, v4, 8, 8
	s_delay_alu instid0(VALU_DEP_1) | instskip(NEXT) | instid1(VALU_DEP_1)
	v_mul_u32_u24_e32 v6, s6, v6
	v_add3_u32 v6, v6, v5, 0
	s_waitcnt lgkmcnt(0)
	v_add_nc_u16 v3, v3, 1
	ds_store_b8 v7, v3
	ds_load_u8 v3, v6
	v_bfe_u32 v7, v4, 16, 8
	v_lshrrev_b32_e32 v4, 24, v4
	s_delay_alu instid0(VALU_DEP_2) | instskip(NEXT) | instid1(VALU_DEP_2)
	v_mul_u32_u24_e32 v7, s6, v7
	v_mul_u32_u24_e32 v4, s6, v4
	s_delay_alu instid0(VALU_DEP_2) | instskip(NEXT) | instid1(VALU_DEP_2)
	v_add3_u32 v7, v7, v5, 0
	v_add3_u32 v4, v4, v5, 0
	s_waitcnt lgkmcnt(0)
	v_add_nc_u16 v3, v3, 1
	ds_store_b8 v6, v3
	ds_load_u8 v3, v7
	s_waitcnt lgkmcnt(0)
	v_add_nc_u16 v3, v3, 1
	ds_store_b8 v7, v3
	ds_load_u8 v3, v4
	s_waitcnt lgkmcnt(0)
	v_add_nc_u16 v3, v3, 1
	ds_store_b8 v4, v3
	s_cbranch_scc0 .LBB0_5
.LBB0_6:
	s_and_b32 s5, s7, 7
	s_delay_alu instid0(SALU_CYCLE_1)
	s_cmp_eq_u32 s5, 0
	s_cbranch_scc1 .LBB0_9
; %bb.7:
	s_delay_alu instid0(VALU_DEP_1) | instskip(NEXT) | instid1(VALU_DEP_1)
	v_add_nc_u32_e32 v0, s4, v0
	v_ashrrev_i32_e32 v1, 31, v0
	v_add_co_u32 v0, vcc_lo, s0, v0
	s_delay_alu instid0(VALU_DEP_2)
	v_add_co_ci_u32_e32 v1, vcc_lo, s1, v1, vcc_lo
	.p2align	6
.LBB0_8:                                ; =>This Inner Loop Header: Depth=1
	global_load_u8 v2, v[0:1], off
	v_add_co_u32 v0, vcc_lo, v0, 1
	v_add_co_ci_u32_e32 v1, vcc_lo, 0, v1, vcc_lo
	s_add_i32 s5, s5, -1
	s_delay_alu instid0(SALU_CYCLE_1) | instskip(SKIP_2) | instid1(VALU_DEP_1)
	s_cmp_lg_u32 s5, 0
	s_waitcnt vmcnt(0)
	v_mul_u32_u24_e32 v2, s6, v2
	v_add3_u32 v2, v2, v5, 0
	ds_load_u8 v3, v2
	s_waitcnt lgkmcnt(0)
	v_add_nc_u16 v3, v3, 1
	ds_store_b8 v2, v3
	s_cbranch_scc1 .LBB0_8
.LBB0_9:
	s_cmpk_gt_u32 s6, 0x100
	s_waitcnt lgkmcnt(0)
	s_barrier
	buffer_gl0_inv
	s_cbranch_scc1 .LBB0_17
; %bb.10:
	v_cvt_f32_u32_e32 v0, s6
	s_mov_b32 s9, 0
	s_mul_i32 s10, s6, s6
	s_delay_alu instid0(VALU_DEP_1) | instskip(SKIP_2) | instid1(VALU_DEP_1)
	v_rcp_iflag_f32_e32 v1, v0
	s_waitcnt_depctr 0xfff
	v_mul_f32_e32 v1, 0x43800000, v1
	v_trunc_f32_e32 v1, v1
	s_delay_alu instid0(VALU_DEP_1) | instskip(SKIP_1) | instid1(VALU_DEP_2)
	v_fma_f32 v2, -v1, v0, 0x43800000
	v_cvt_u32_f32_e32 v1, v1
	v_cmp_ge_f32_e64 s0, |v2|, v0
	s_delay_alu instid0(VALU_DEP_2) | instskip(SKIP_1) | instid1(VALU_DEP_3)
	v_readfirstlane_b32 s1, v1
	v_mad_u32_u24 v0, v5, s6, 0
	s_cmp_lg_u32 s0, 0
	s_delay_alu instid0(VALU_DEP_2)
	s_addc_u32 s0, s1, 0
	s_max_u32 s1, s6, 1
	s_lshl_b32 s4, s15, 8
	s_and_b32 s5, s0, 0xffff
	s_and_b32 s7, s1, 7
	s_cmp_gt_u32 s6, 7
	s_cselect_b32 s0, -1, 0
	s_and_b32 s8, s1, 0x1f8
	s_cmp_lg_u32 s7, 0
	v_cndmask_b32_e64 v1, 0, 1, s0
	s_cselect_b32 s0, -1, 0
	s_delay_alu instid0(SALU_CYCLE_1) | instskip(NEXT) | instid1(VALU_DEP_2)
	v_cndmask_b32_e64 v2, 0, 1, s0
	v_cmp_ne_u32_e64 s0, 1, v1
	s_delay_alu instid0(VALU_DEP_2)
	v_cmp_ne_u32_e64 s1, 1, v2
	s_branch .LBB0_12
.LBB0_11:                               ;   in Loop: Header=BB0_12 Depth=1
	s_mul_i32 s11, s9, s6
	v_add_nc_u32_e32 v0, s10, v0
	v_add3_u32 v2, s4, s11, v5
	s_add_i32 s9, s9, 1
	s_delay_alu instid0(SALU_CYCLE_1) | instskip(NEXT) | instid1(VALU_DEP_1)
	s_cmp_ge_u32 s9, s5
	v_ashrrev_i32_e32 v3, 31, v2
	s_delay_alu instid0(VALU_DEP_1) | instskip(NEXT) | instid1(VALU_DEP_1)
	v_lshlrev_b64 v[2:3], 2, v[2:3]
	v_add_co_u32 v2, vcc_lo, s2, v2
	s_delay_alu instid0(VALU_DEP_2)
	v_add_co_ci_u32_e32 v3, vcc_lo, s3, v3, vcc_lo
	global_store_b32 v[2:3], v1, off
	s_cbranch_scc1 .LBB0_17
.LBB0_12:                               ; =>This Loop Header: Depth=1
                                        ;     Child Loop BB0_13 Depth 2
                                        ;     Child Loop BB0_16 Depth 2
	v_mov_b32_e32 v1, 0
	s_mov_b32 s11, 0
	s_and_b32 vcc_lo, exec_lo, s0
	s_cbranch_vccnz .LBB0_15
	.p2align	6
.LBB0_13:                               ;   Parent Loop BB0_12 Depth=1
                                        ; =>  This Inner Loop Header: Depth=2
	v_add_nc_u32_e32 v2, s11, v0
	s_add_i32 s11, s11, 8
	s_delay_alu instid0(SALU_CYCLE_1)
	s_cmp_eq_u32 s8, s11
	ds_load_b64 v[2:3], v2
	s_waitcnt lgkmcnt(0)
	v_and_b32_e32 v4, 0xff, v2
	v_bfe_u32 v6, v2, 8, 8
	v_lshrrev_b32_e32 v7, 24, v2
	v_bfe_u32 v2, v2, 16, 8
	s_delay_alu instid0(VALU_DEP_3) | instskip(SKIP_2) | instid1(VALU_DEP_3)
	v_add3_u32 v1, v1, v4, v6
	v_and_b32_e32 v4, 0xff, v3
	v_bfe_u32 v6, v3, 8, 8
	v_add3_u32 v1, v1, v2, v7
	v_lshrrev_b32_e32 v2, 24, v3
	v_bfe_u32 v3, v3, 16, 8
	s_delay_alu instid0(VALU_DEP_3) | instskip(NEXT) | instid1(VALU_DEP_1)
	v_add3_u32 v1, v1, v4, v6
	v_add3_u32 v1, v1, v3, v2
	s_cbranch_scc0 .LBB0_13
; %bb.14:                               ;   in Loop: Header=BB0_12 Depth=1
	s_mov_b32 s11, s8
.LBB0_15:                               ;   in Loop: Header=BB0_12 Depth=1
	s_and_b32 vcc_lo, exec_lo, s1
	s_mov_b32 s12, s7
	s_cbranch_vccnz .LBB0_11
.LBB0_16:                               ;   Parent Loop BB0_12 Depth=1
                                        ; =>  This Inner Loop Header: Depth=2
	v_add_nc_u32_e32 v2, s11, v0
	s_add_i32 s12, s12, -1
	s_add_i32 s11, s11, 1
	s_cmp_lg_u32 s12, 0
	ds_load_u8 v2, v2
	s_waitcnt lgkmcnt(0)
	v_add_nc_u32_e32 v1, v1, v2
	s_cbranch_scc1 .LBB0_16
	s_branch .LBB0_11
.LBB0_17:
	s_nop 0
	s_sendmsg sendmsg(MSG_DEALLOC_VGPRS)
	s_endpgm
	.section	.rodata,"a",@progbits
	.p2align	6, 0x0
	.amdhsa_kernel _Z18histogram256_blockPhPji
		.amdhsa_group_segment_fixed_size 0
		.amdhsa_private_segment_fixed_size 0
		.amdhsa_kernarg_size 280
		.amdhsa_user_sgpr_count 15
		.amdhsa_user_sgpr_dispatch_ptr 0
		.amdhsa_user_sgpr_queue_ptr 0
		.amdhsa_user_sgpr_kernarg_segment_ptr 1
		.amdhsa_user_sgpr_dispatch_id 0
		.amdhsa_user_sgpr_private_segment_size 0
		.amdhsa_wavefront_size32 1
		.amdhsa_uses_dynamic_stack 0
		.amdhsa_enable_private_segment 0
		.amdhsa_system_sgpr_workgroup_id_x 1
		.amdhsa_system_sgpr_workgroup_id_y 0
		.amdhsa_system_sgpr_workgroup_id_z 0
		.amdhsa_system_sgpr_workgroup_info 0
		.amdhsa_system_vgpr_workitem_id 0
		.amdhsa_next_free_vgpr 9
		.amdhsa_next_free_sgpr 16
		.amdhsa_reserve_vcc 1
		.amdhsa_float_round_mode_32 0
		.amdhsa_float_round_mode_16_64 0
		.amdhsa_float_denorm_mode_32 3
		.amdhsa_float_denorm_mode_16_64 3
		.amdhsa_dx10_clamp 1
		.amdhsa_ieee_mode 1
		.amdhsa_fp16_overflow 0
		.amdhsa_workgroup_processor_mode 1
		.amdhsa_memory_ordered 1
		.amdhsa_forward_progress 0
		.amdhsa_shared_vgpr_count 0
		.amdhsa_exception_fp_ieee_invalid_op 0
		.amdhsa_exception_fp_denorm_src 0
		.amdhsa_exception_fp_ieee_div_zero 0
		.amdhsa_exception_fp_ieee_overflow 0
		.amdhsa_exception_fp_ieee_underflow 0
		.amdhsa_exception_fp_ieee_inexact 0
		.amdhsa_exception_int_div_zero 0
	.end_amdhsa_kernel
	.text
.Lfunc_end0:
	.size	_Z18histogram256_blockPhPji, .Lfunc_end0-_Z18histogram256_blockPhPji
                                        ; -- End function
	.section	.AMDGPU.csdata,"",@progbits
; Kernel info:
; codeLenInByte = 1296
; NumSgprs: 18
; NumVgprs: 9
; ScratchSize: 0
; MemoryBound: 0
; FloatMode: 240
; IeeeMode: 1
; LDSByteSize: 0 bytes/workgroup (compile time only)
; SGPRBlocks: 2
; VGPRBlocks: 1
; NumSGPRsForWavesPerEU: 18
; NumVGPRsForWavesPerEU: 9
; Occupancy: 16
; WaveLimiterHint : 0
; COMPUTE_PGM_RSRC2:SCRATCH_EN: 0
; COMPUTE_PGM_RSRC2:USER_SGPR: 15
; COMPUTE_PGM_RSRC2:TRAP_HANDLER: 0
; COMPUTE_PGM_RSRC2:TGID_X_EN: 1
; COMPUTE_PGM_RSRC2:TGID_Y_EN: 0
; COMPUTE_PGM_RSRC2:TGID_Z_EN: 0
; COMPUTE_PGM_RSRC2:TIDIG_COMP_CNT: 0
	.text
	.p2alignl 7, 3214868480
	.fill 96, 4, 3214868480
	.type	__hip_cuid_7091f665278068a9,@object ; @__hip_cuid_7091f665278068a9
	.section	.bss,"aw",@nobits
	.globl	__hip_cuid_7091f665278068a9
__hip_cuid_7091f665278068a9:
	.byte	0                               ; 0x0
	.size	__hip_cuid_7091f665278068a9, 1

	.ident	"AMD clang version 19.0.0git (https://github.com/RadeonOpenCompute/llvm-project roc-6.4.0 25133 c7fe45cf4b819c5991fe208aaa96edf142730f1d)"
	.section	".note.GNU-stack","",@progbits
	.addrsig
	.addrsig_sym __hip_cuid_7091f665278068a9
	.amdgpu_metadata
---
amdhsa.kernels:
  - .args:
      - .address_space:  global
        .offset:         0
        .size:           8
        .value_kind:     global_buffer
      - .address_space:  global
        .offset:         8
        .size:           8
        .value_kind:     global_buffer
      - .offset:         16
        .size:           4
        .value_kind:     by_value
      - .offset:         24
        .size:           4
        .value_kind:     hidden_block_count_x
      - .offset:         28
        .size:           4
        .value_kind:     hidden_block_count_y
      - .offset:         32
        .size:           4
        .value_kind:     hidden_block_count_z
      - .offset:         36
        .size:           2
        .value_kind:     hidden_group_size_x
      - .offset:         38
        .size:           2
        .value_kind:     hidden_group_size_y
      - .offset:         40
        .size:           2
        .value_kind:     hidden_group_size_z
      - .offset:         42
        .size:           2
        .value_kind:     hidden_remainder_x
      - .offset:         44
        .size:           2
        .value_kind:     hidden_remainder_y
      - .offset:         46
        .size:           2
        .value_kind:     hidden_remainder_z
      - .offset:         64
        .size:           8
        .value_kind:     hidden_global_offset_x
      - .offset:         72
        .size:           8
        .value_kind:     hidden_global_offset_y
      - .offset:         80
        .size:           8
        .value_kind:     hidden_global_offset_z
      - .offset:         88
        .size:           2
        .value_kind:     hidden_grid_dims
      - .offset:         144
        .size:           4
        .value_kind:     hidden_dynamic_lds_size
    .group_segment_fixed_size: 0
    .kernarg_segment_align: 8
    .kernarg_segment_size: 280
    .language:       OpenCL C
    .language_version:
      - 2
      - 0
    .max_flat_workgroup_size: 1024
    .name:           _Z18histogram256_blockPhPji
    .private_segment_fixed_size: 0
    .sgpr_count:     18
    .sgpr_spill_count: 0
    .symbol:         _Z18histogram256_blockPhPji.kd
    .uniform_work_group_size: 1
    .uses_dynamic_stack: false
    .vgpr_count:     9
    .vgpr_spill_count: 0
    .wavefront_size: 32
    .workgroup_processor_mode: 1
amdhsa.target:   amdgcn-amd-amdhsa--gfx1100
amdhsa.version:
  - 1
  - 2
...

	.end_amdgpu_metadata
